;; amdgpu-corpus repo=ROCm/rocFFT kind=compiled arch=gfx1201 opt=O3
	.text
	.amdgcn_target "amdgcn-amd-amdhsa--gfx1201"
	.amdhsa_code_object_version 6
	.protected	bluestein_single_back_len275_dim1_dp_op_CI_CI ; -- Begin function bluestein_single_back_len275_dim1_dp_op_CI_CI
	.globl	bluestein_single_back_len275_dim1_dp_op_CI_CI
	.p2align	8
	.type	bluestein_single_back_len275_dim1_dp_op_CI_CI,@function
bluestein_single_back_len275_dim1_dp_op_CI_CI: ; @bluestein_single_back_len275_dim1_dp_op_CI_CI
; %bb.0:
	s_load_b128 s[8:11], s[0:1], 0x28
	v_mul_u32_u24_e32 v1, 0x4a8, v0
	s_mov_b32 s2, exec_lo
	v_mov_b32_e32 v77, 0
	s_delay_alu instid0(VALU_DEP_2) | instskip(NEXT) | instid1(VALU_DEP_1)
	v_lshrrev_b32_e32 v1, 16, v1
	v_add_nc_u32_e32 v76, ttmp9, v1
	s_wait_kmcnt 0x0
	s_delay_alu instid0(VALU_DEP_1)
	v_cmpx_gt_u64_e64 s[8:9], v[76:77]
	s_cbranch_execz .LBB0_15
; %bb.1:
	s_clause 0x1
	s_load_b64 s[12:13], s[0:1], 0x0
	s_load_b64 s[8:9], s[0:1], 0x38
	v_mul_lo_u16 v1, v1, 55
	s_delay_alu instid0(VALU_DEP_1) | instskip(NEXT) | instid1(VALU_DEP_1)
	v_sub_nc_u16 v0, v0, v1
	v_and_b32_e32 v170, 0xffff, v0
	v_cmp_gt_u16_e32 vcc_lo, 25, v0
	s_delay_alu instid0(VALU_DEP_2)
	v_lshlrev_b32_e32 v169, 4, v170
	s_and_saveexec_b32 s3, vcc_lo
	s_cbranch_execz .LBB0_3
; %bb.2:
	s_load_b64 s[4:5], s[0:1], 0x18
	s_wait_kmcnt 0x0
	s_load_b128 s[4:7], s[4:5], 0x0
	s_wait_kmcnt 0x0
	v_mad_co_u64_u32 v[8:9], null, s4, v170, 0
	v_mad_co_u64_u32 v[0:1], null, s6, v76, 0
	s_delay_alu instid0(VALU_DEP_2) | instskip(NEXT) | instid1(VALU_DEP_1)
	v_mov_b32_e32 v2, v9
	v_mad_co_u64_u32 v[3:4], null, s7, v76, v[1:2]
	s_delay_alu instid0(VALU_DEP_1) | instskip(SKIP_2) | instid1(VALU_DEP_2)
	v_mov_b32_e32 v1, v3
	v_mad_co_u64_u32 v[4:5], null, s5, v170, v[2:3]
	s_mul_u64 s[4:5], s[4:5], 0x190
	v_lshlrev_b64_e32 v[10:11], 4, v[0:1]
	s_delay_alu instid0(VALU_DEP_2) | instskip(SKIP_4) | instid1(VALU_DEP_1)
	v_mov_b32_e32 v9, v4
	s_clause 0x1
	global_load_b128 v[0:3], v169, s[12:13]
	global_load_b128 v[4:7], v169, s[12:13] offset:400
	v_add_co_u32 v18, s2, s10, v10
	v_add_co_ci_u32_e64 v19, s2, s11, v11, s2
	v_lshlrev_b64_e32 v[16:17], 4, v[8:9]
	s_clause 0x1
	global_load_b128 v[8:11], v169, s[12:13] offset:800
	global_load_b128 v[12:15], v169, s[12:13] offset:1200
	v_add_co_u32 v32, s2, v18, v16
	s_wait_alu 0xf1ff
	v_add_co_ci_u32_e64 v33, s2, v19, v17, s2
	s_clause 0x1
	global_load_b128 v[16:19], v169, s[12:13] offset:1600
	global_load_b128 v[20:23], v169, s[12:13] offset:2000
	s_wait_alu 0xfffe
	v_add_co_u32 v36, s2, v32, s4
	s_wait_alu 0xf1ff
	v_add_co_ci_u32_e64 v37, s2, s5, v33, s2
	s_clause 0x1
	global_load_b128 v[24:27], v169, s[12:13] offset:2400
	global_load_b128 v[28:31], v169, s[12:13] offset:2800
	v_add_co_u32 v40, s2, v36, s4
	s_wait_alu 0xf1ff
	v_add_co_ci_u32_e64 v41, s2, s5, v37, s2
	s_clause 0x1
	global_load_b128 v[32:35], v[32:33], off
	global_load_b128 v[36:39], v[36:37], off
	v_add_co_u32 v44, s2, v40, s4
	s_wait_alu 0xf1ff
	v_add_co_ci_u32_e64 v45, s2, s5, v41, s2
	s_delay_alu instid0(VALU_DEP_2) | instskip(SKIP_1) | instid1(VALU_DEP_2)
	v_add_co_u32 v48, s2, v44, s4
	s_wait_alu 0xf1ff
	v_add_co_ci_u32_e64 v49, s2, s5, v45, s2
	s_clause 0x1
	global_load_b128 v[40:43], v[40:41], off
	global_load_b128 v[44:47], v[44:45], off
	v_add_co_u32 v52, s2, v48, s4
	s_wait_alu 0xf1ff
	v_add_co_ci_u32_e64 v53, s2, s5, v49, s2
	global_load_b128 v[48:51], v[48:49], off
	v_add_co_u32 v56, s2, v52, s4
	s_wait_alu 0xf1ff
	v_add_co_ci_u32_e64 v57, s2, s5, v53, s2
	;; [unrolled: 4-line block ×6, first 2 shown]
	s_clause 0x1
	global_load_b128 v[68:71], v169, s[12:13] offset:3200
	global_load_b128 v[72:75], v169, s[12:13] offset:3600
	global_load_b128 v[77:80], v[77:78], off
	global_load_b128 v[81:84], v169, s[12:13] offset:4000
	global_load_b128 v[85:88], v[85:86], off
	s_wait_loadcnt 0xd
	v_mul_f64_e32 v[89:90], v[34:35], v[2:3]
	v_mul_f64_e32 v[2:3], v[32:33], v[2:3]
	s_wait_loadcnt 0xc
	v_mul_f64_e32 v[91:92], v[38:39], v[6:7]
	v_mul_f64_e32 v[6:7], v[36:37], v[6:7]
	;; [unrolled: 3-line block ×11, first 2 shown]
	v_fma_f64 v[30:31], v[32:33], v[0:1], v[89:90]
	v_fma_f64 v[32:33], v[34:35], v[0:1], -v[2:3]
	v_fma_f64 v[0:1], v[36:37], v[4:5], v[91:92]
	v_fma_f64 v[2:3], v[38:39], v[4:5], -v[6:7]
	;; [unrolled: 2-line block ×11, first 2 shown]
	ds_store_b128 v169, v[30:33]
	ds_store_b128 v169, v[0:3] offset:400
	ds_store_b128 v169, v[4:7] offset:800
	;; [unrolled: 1-line block ×10, first 2 shown]
.LBB0_3:
	s_or_b32 exec_lo, exec_lo, s3
	s_clause 0x1
	s_load_b64 s[2:3], s[0:1], 0x20
	s_load_b64 s[4:5], s[0:1], 0x8
	global_wb scope:SCOPE_SE
	s_wait_dscnt 0x0
	s_wait_kmcnt 0x0
	s_barrier_signal -1
	s_barrier_wait -1
	global_inv scope:SCOPE_SE
                                        ; implicit-def: $vgpr24_vgpr25
                                        ; implicit-def: $vgpr44_vgpr45
                                        ; implicit-def: $vgpr52_vgpr53
                                        ; implicit-def: $vgpr60_vgpr61
                                        ; implicit-def: $vgpr64_vgpr65
                                        ; implicit-def: $vgpr56_vgpr57
                                        ; implicit-def: $vgpr48_vgpr49
                                        ; implicit-def: $vgpr40_vgpr41
                                        ; implicit-def: $vgpr36_vgpr37
                                        ; implicit-def: $vgpr28_vgpr29
                                        ; implicit-def: $vgpr32_vgpr33
	s_and_saveexec_b32 s0, vcc_lo
	s_cbranch_execz .LBB0_5
; %bb.4:
	ds_load_b128 v[24:27], v169
	ds_load_b128 v[44:47], v169 offset:400
	ds_load_b128 v[52:55], v169 offset:800
	ds_load_b128 v[60:63], v169 offset:1200
	ds_load_b128 v[64:67], v169 offset:1600
	ds_load_b128 v[56:59], v169 offset:2000
	ds_load_b128 v[48:51], v169 offset:2400
	ds_load_b128 v[40:43], v169 offset:2800
	ds_load_b128 v[36:39], v169 offset:3200
	ds_load_b128 v[28:31], v169 offset:3600
	ds_load_b128 v[32:35], v169 offset:4000
.LBB0_5:
	s_wait_alu 0xfffe
	s_or_b32 exec_lo, exec_lo, s0
	s_wait_dscnt 0x0
	v_add_f64_e64 v[0:1], v[46:47], -v[34:35]
	v_add_f64_e64 v[2:3], v[44:45], -v[32:33]
	s_mov_b32 s6, 0xf8bb580b
	s_mov_b32 s22, 0x43842ef
	;; [unrolled: 1-line block ×10, first 2 shown]
	v_add_f64_e32 v[68:69], v[44:45], v[32:33]
	v_add_f64_e32 v[70:71], v[46:47], v[34:35]
	v_add_f64_e64 v[4:5], v[54:55], -v[30:31]
	v_add_f64_e64 v[6:7], v[52:53], -v[28:29]
	s_mov_b32 s0, 0x8764f0ba
	s_mov_b32 s10, 0xd9c712b6
	;; [unrolled: 1-line block ×14, first 2 shown]
	s_wait_alu 0xfffe
	s_mov_b32 s28, s6
	s_mov_b32 s17, 0xbfeeb42a
	v_add_f64_e32 v[72:73], v[52:53], v[28:29]
	v_add_f64_e32 v[109:110], v[54:55], v[30:31]
	v_add_f64_e64 v[8:9], v[62:63], -v[38:39]
	v_add_f64_e64 v[10:11], v[60:61], -v[36:37]
	v_add_f64_e32 v[93:94], v[60:61], v[36:37]
	v_add_f64_e32 v[143:144], v[62:63], v[38:39]
	v_mul_f64_e32 v[74:75], s[6:7], v[0:1]
	v_mul_f64_e32 v[77:78], s[6:7], v[2:3]
	;; [unrolled: 1-line block ×10, first 2 shown]
	v_add_f64_e64 v[145:146], v[66:67], -v[42:43]
	v_add_f64_e64 v[147:148], v[64:65], -v[40:41]
	v_add_f64_e32 v[157:158], v[64:65], v[40:41]
	v_add_f64_e32 v[159:160], v[66:67], v[42:43]
	v_mul_f64_e32 v[91:92], s[20:21], v[4:5]
	v_mul_f64_e32 v[95:96], s[20:21], v[6:7]
	;; [unrolled: 1-line block ×10, first 2 shown]
	s_mov_b32 s21, 0x3fed1bb4
	v_add_f64_e64 v[183:184], v[58:59], -v[50:51]
	v_add_f64_e64 v[185:186], v[56:57], -v[48:49]
	global_wb scope:SCOPE_SE
	s_barrier_signal -1
	s_barrier_wait -1
	global_inv scope:SCOPE_SE
	v_mul_f64_e32 v[111:112], s[22:23], v[8:9]
	v_mul_f64_e32 v[113:114], s[22:23], v[10:11]
	;; [unrolled: 1-line block ×4, first 2 shown]
	v_fma_f64 v[12:13], v[68:69], s[0:1], v[74:75]
	v_fma_f64 v[14:15], v[70:71], s[0:1], -v[77:78]
	v_fma_f64 v[16:17], v[68:69], s[10:11], v[79:80]
	v_fma_f64 v[18:19], v[70:71], s[10:11], -v[81:82]
	;; [unrolled: 2-line block ×4, first 2 shown]
	v_fma_f64 v[131:132], v[68:69], s[16:17], -v[0:1]
	v_fma_f64 v[133:134], v[70:71], s[16:17], v[2:3]
	v_fma_f64 v[0:1], v[68:69], s[16:17], v[0:1]
	v_fma_f64 v[2:3], v[70:71], s[16:17], -v[2:3]
	v_mul_f64_e32 v[119:120], s[6:7], v[8:9]
	v_mul_f64_e32 v[123:124], s[6:7], v[10:11]
	;; [unrolled: 1-line block ×4, first 2 shown]
	s_wait_alu 0xfffe
	v_mul_f64_e32 v[121:122], s[20:21], v[8:9]
	v_mul_f64_e32 v[127:128], s[20:21], v[10:11]
	v_fma_f64 v[8:9], v[72:73], s[10:11], v[91:92]
	v_fma_f64 v[10:11], v[109:110], s[10:11], -v[95:96]
	v_fma_f64 v[153:154], v[72:73], s[14:15], v[97:98]
	v_fma_f64 v[155:156], v[109:110], s[14:15], -v[99:100]
	v_fma_f64 v[161:162], v[72:73], s[16:17], v[101:102]
	v_fma_f64 v[163:164], v[109:110], s[16:17], -v[103:104]
	v_fma_f64 v[165:166], v[72:73], s[18:19], v[105:106]
	v_fma_f64 v[167:168], v[109:110], s[18:19], -v[107:108]
	v_fma_f64 v[171:172], v[72:73], s[0:1], -v[4:5]
	v_fma_f64 v[173:174], v[109:110], s[0:1], v[6:7]
	v_fma_f64 v[4:5], v[72:73], s[0:1], v[4:5]
	v_fma_f64 v[6:7], v[109:110], s[0:1], -v[6:7]
	v_mul_f64_e32 v[135:136], s[6:7], v[145:146]
	v_mul_f64_e32 v[137:138], s[6:7], v[147:148]
	;; [unrolled: 1-line block ×6, first 2 shown]
	v_fma_f64 v[191:192], v[93:94], s[18:19], v[111:112]
	v_fma_f64 v[193:194], v[143:144], s[18:19], -v[113:114]
	v_add_f64_e32 v[12:13], v[24:25], v[12:13]
	v_add_f64_e32 v[14:15], v[26:27], v[14:15]
	;; [unrolled: 1-line block ×12, first 2 shown]
	v_mul_f64_e32 v[125:126], s[24:25], v[145:146]
	v_mul_f64_e32 v[129:130], s[24:25], v[147:148]
	;; [unrolled: 1-line block ×4, first 2 shown]
	v_fma_f64 v[195:196], v[93:94], s[16:17], v[115:116]
	v_fma_f64 v[197:198], v[143:144], s[16:17], -v[117:118]
	v_fma_f64 v[199:200], v[93:94], s[0:1], v[119:120]
	v_fma_f64 v[201:202], v[143:144], s[0:1], -v[123:124]
	v_fma_f64 v[203:204], v[93:94], s[14:15], -v[149:150]
	v_fma_f64 v[205:206], v[143:144], s[14:15], v[151:152]
	v_fma_f64 v[207:208], v[93:94], s[14:15], v[149:150]
	v_fma_f64 v[209:210], v[143:144], s[14:15], -v[151:152]
	v_fma_f64 v[211:212], v[93:94], s[10:11], v[121:122]
	v_fma_f64 v[213:214], v[143:144], s[10:11], -v[127:128]
	v_mul_f64_e32 v[145:146], s[26:27], v[183:184]
	v_mul_f64_e32 v[147:148], s[26:27], v[185:186]
	;; [unrolled: 1-line block ×4, first 2 shown]
	v_fma_f64 v[215:216], v[157:158], s[16:17], v[139:140]
	v_fma_f64 v[217:218], v[159:160], s[16:17], -v[141:142]
	v_fma_f64 v[219:220], v[157:158], s[10:11], -v[187:188]
	v_fma_f64 v[221:222], v[159:160], s[10:11], v[189:190]
	v_fma_f64 v[187:188], v[157:158], s[10:11], v[187:188]
	v_fma_f64 v[189:190], v[159:160], s[10:11], -v[189:190]
	v_add_f64_e32 v[8:9], v[8:9], v[12:13]
	v_add_f64_e32 v[10:11], v[10:11], v[14:15]
	;; [unrolled: 1-line block ×14, first 2 shown]
	v_mul_f64_e32 v[153:154], s[24:25], v[183:184]
	v_mul_f64_e32 v[155:156], s[24:25], v[185:186]
	;; [unrolled: 1-line block ×6, first 2 shown]
	v_fma_f64 v[175:176], v[157:158], s[14:15], v[125:126]
	v_fma_f64 v[177:178], v[159:160], s[14:15], -v[129:130]
	v_fma_f64 v[179:180], v[157:158], s[18:19], v[131:132]
	v_fma_f64 v[181:182], v[159:160], s[18:19], -v[133:134]
	;; [unrolled: 2-line block ×3, first 2 shown]
	v_add_f64_e32 v[8:9], v[191:192], v[8:9]
	v_add_f64_e32 v[10:11], v[193:194], v[10:11]
	v_add_f64_e32 v[12:13], v[195:196], v[12:13]
	v_add_f64_e32 v[14:15], v[197:198], v[14:15]
	v_add_f64_e32 v[16:17], v[211:212], v[16:17]
	v_add_f64_e32 v[18:19], v[213:214], v[18:19]
	v_add_f64_e32 v[20:21], v[199:200], v[20:21]
	v_add_f64_e32 v[22:23], v[201:202], v[22:23]
	v_add_f64_e32 v[171:172], v[203:204], v[171:172]
	v_add_f64_e32 v[173:174], v[205:206], v[173:174]
	v_add_f64_e32 v[0:1], v[207:208], v[0:1]
	v_add_f64_e32 v[2:3], v[209:210], v[2:3]
	v_fma_f64 v[191:192], v[165:166], s[16:17], v[145:146]
	v_fma_f64 v[193:194], v[167:168], s[16:17], -v[147:148]
	v_fma_f64 v[195:196], v[165:166], s[0:1], v[149:150]
	v_fma_f64 v[197:198], v[167:168], s[0:1], -v[151:152]
	;; [unrolled: 2-line block ×3, first 2 shown]
	v_fma_f64 v[203:204], v[165:166], s[18:19], -v[4:5]
	v_fma_f64 v[205:206], v[167:168], s[18:19], v[6:7]
	v_fma_f64 v[207:208], v[165:166], s[18:19], v[4:5]
	v_fma_f64 v[209:210], v[167:168], s[18:19], -v[6:7]
	v_fma_f64 v[211:212], v[165:166], s[10:11], v[161:162]
	v_fma_f64 v[213:214], v[167:168], s[10:11], -v[163:164]
	v_add_f64_e32 v[4:5], v[175:176], v[8:9]
	v_add_f64_e32 v[6:7], v[177:178], v[10:11]
	;; [unrolled: 1-line block ×24, first 2 shown]
	v_mul_lo_u16 v171, v170, 11
	s_and_saveexec_b32 s6, vcc_lo
	s_cbranch_execz .LBB0_7
; %bb.6:
	v_add_f64_e32 v[46:47], v[26:27], v[46:47]
	v_add_f64_e32 v[44:45], v[24:25], v[44:45]
	v_mul_f64_e32 v[172:173], s[10:11], v[68:69]
	v_mul_f64_e32 v[174:175], s[18:19], v[68:69]
	;; [unrolled: 1-line block ×6, first 2 shown]
	v_add_f64_e32 v[46:47], v[46:47], v[54:55]
	v_add_f64_e32 v[44:45], v[44:45], v[52:53]
	v_mul_f64_e32 v[52:53], s[14:15], v[70:71]
	v_mul_f64_e32 v[54:55], s[14:15], v[68:69]
	v_add_f64_e64 v[79:80], v[172:173], -v[79:80]
	v_add_f64_e32 v[99:100], v[99:100], v[180:181]
	v_add_f64_e64 v[97:98], v[182:183], -v[97:98]
	v_add_f64_e64 v[101:102], v[178:179], -v[101:102]
	v_add_f64_e32 v[46:47], v[46:47], v[62:63]
	v_add_f64_e32 v[44:45], v[44:45], v[60:61]
	v_mul_f64_e32 v[62:63], s[10:11], v[70:71]
	v_mul_f64_e32 v[60:61], s[18:19], v[70:71]
	;; [unrolled: 1-line block ×3, first 2 shown]
	v_add_f64_e32 v[52:53], v[89:90], v[52:53]
	v_add_f64_e64 v[54:55], v[54:55], -v[87:88]
	v_add_f64_e32 v[79:80], v[24:25], v[79:80]
	v_mul_f64_e32 v[87:88], s[0:1], v[93:94]
	v_mul_f64_e32 v[89:90], s[0:1], v[143:144]
	v_add_f64_e32 v[46:47], v[46:47], v[66:67]
	v_add_f64_e32 v[44:45], v[44:45], v[64:65]
	v_mul_f64_e32 v[64:65], s[0:1], v[68:69]
	v_mul_f64_e32 v[66:67], s[18:19], v[109:110]
	v_add_f64_e32 v[62:63], v[81:82], v[62:63]
	v_mul_f64_e32 v[68:69], s[18:19], v[72:73]
	v_add_f64_e32 v[60:61], v[85:86], v[60:61]
	v_add_f64_e64 v[81:82], v[174:175], -v[83:84]
	v_mul_f64_e32 v[109:110], s[10:11], v[109:110]
	v_mul_f64_e32 v[72:73], s[10:11], v[72:73]
	v_add_f64_e32 v[70:71], v[77:78], v[70:71]
	v_mul_f64_e32 v[77:78], s[16:17], v[143:144]
	v_add_f64_e32 v[52:53], v[26:27], v[52:53]
	v_mul_f64_e32 v[83:84], s[10:11], v[93:94]
	v_mul_f64_e32 v[85:86], s[10:11], v[143:144]
	v_add_f64_e32 v[54:55], v[24:25], v[54:55]
	v_add_f64_e32 v[89:90], v[123:124], v[89:90]
	v_add_f64_e64 v[87:88], v[87:88], -v[119:120]
	v_add_f64_e32 v[46:47], v[46:47], v[58:59]
	v_add_f64_e32 v[44:45], v[44:45], v[56:57]
	v_add_f64_e64 v[56:57], v[64:65], -v[74:75]
	v_mul_f64_e32 v[74:75], s[16:17], v[93:94]
	v_add_f64_e32 v[66:67], v[107:108], v[66:67]
	v_add_f64_e32 v[62:63], v[26:27], v[62:63]
	v_mul_f64_e32 v[58:59], s[18:19], v[93:94]
	v_add_f64_e64 v[68:69], v[68:69], -v[105:106]
	v_add_f64_e32 v[93:94], v[103:104], v[176:177]
	v_add_f64_e32 v[60:61], v[26:27], v[60:61]
	;; [unrolled: 1-line block ×3, first 2 shown]
	v_mul_f64_e32 v[64:65], s[18:19], v[143:144]
	v_add_f64_e32 v[95:96], v[95:96], v[109:110]
	v_add_f64_e64 v[72:73], v[72:73], -v[91:92]
	v_add_f64_e32 v[26:27], v[26:27], v[70:71]
	v_mul_f64_e32 v[70:71], s[18:19], v[159:160]
	v_add_f64_e32 v[77:78], v[117:118], v[77:78]
	v_mul_f64_e32 v[91:92], s[0:1], v[157:158]
	v_mul_f64_e32 v[103:104], s[0:1], v[159:160]
	v_add_f64_e32 v[85:86], v[127:128], v[85:86]
	v_add_f64_e64 v[83:84], v[83:84], -v[121:122]
	v_mul_f64_e32 v[105:106], s[16:17], v[157:158]
	v_mul_f64_e32 v[107:108], s[16:17], v[159:160]
	v_add_f64_e32 v[46:47], v[46:47], v[50:51]
	v_add_f64_e32 v[44:45], v[44:45], v[48:49]
	v_add_f64_e32 v[24:25], v[24:25], v[56:57]
	v_mul_f64_e32 v[56:57], s[18:19], v[157:158]
	v_add_f64_e64 v[74:75], v[74:75], -v[115:116]
	v_add_f64_e32 v[52:53], v[66:67], v[52:53]
	v_add_f64_e32 v[62:63], v[99:100], v[62:63]
	;; [unrolled: 1-line block ×6, first 2 shown]
	v_mul_f64_e32 v[48:49], s[14:15], v[157:158]
	v_mul_f64_e32 v[50:51], s[14:15], v[159:160]
	v_add_f64_e32 v[64:65], v[113:114], v[64:65]
	v_add_f64_e64 v[58:59], v[58:59], -v[111:112]
	v_add_f64_e32 v[26:27], v[95:96], v[26:27]
	v_mul_f64_e32 v[79:80], s[0:1], v[167:168]
	v_add_f64_e32 v[70:71], v[133:134], v[70:71]
	v_mul_f64_e32 v[81:82], s[14:15], v[165:166]
	v_mul_f64_e32 v[93:94], s[14:15], v[167:168]
	v_add_f64_e32 v[103:104], v[137:138], v[103:104]
	v_add_f64_e64 v[91:92], v[91:92], -v[135:136]
	v_mul_f64_e32 v[95:96], s[10:11], v[165:166]
	v_mul_f64_e32 v[97:98], s[10:11], v[167:168]
	v_add_f64_e32 v[99:100], v[141:142], v[107:108]
	v_add_f64_e64 v[101:102], v[105:106], -v[139:140]
	v_add_f64_e32 v[42:43], v[46:47], v[42:43]
	v_add_f64_e32 v[40:41], v[44:45], v[40:41]
	v_add_f64_e32 v[24:25], v[72:73], v[24:25]
	v_mul_f64_e32 v[72:73], s[0:1], v[165:166]
	v_add_f64_e64 v[56:57], v[56:57], -v[131:132]
	v_add_f64_e32 v[52:53], v[89:90], v[52:53]
	v_add_f64_e32 v[62:63], v[77:78], v[62:63]
	;; [unrolled: 1-line block ×6, first 2 shown]
	v_mul_f64_e32 v[44:45], s[16:17], v[165:166]
	v_mul_f64_e32 v[46:47], s[16:17], v[167:168]
	v_add_f64_e32 v[50:51], v[129:130], v[50:51]
	v_add_f64_e64 v[48:49], v[48:49], -v[125:126]
	v_add_f64_e32 v[26:27], v[64:65], v[26:27]
	v_add_f64_e32 v[74:75], v[151:152], v[79:80]
	v_add_f64_e64 v[64:65], v[81:82], -v[153:154]
	v_add_f64_e32 v[38:39], v[42:43], v[38:39]
	v_add_f64_e32 v[36:37], v[40:41], v[36:37]
	;; [unrolled: 1-line block ×3, first 2 shown]
	v_add_f64_e64 v[72:73], v[72:73], -v[149:150]
	v_add_f64_e32 v[58:59], v[155:156], v[93:94]
	v_add_f64_e32 v[40:41], v[163:164], v[97:98]
	;; [unrolled: 1-line block ×4, first 2 shown]
	v_add_f64_e64 v[42:43], v[95:96], -v[161:162]
	v_add_f64_e32 v[60:61], v[103:104], v[60:61]
	v_add_f64_e32 v[66:67], v[91:92], v[68:69]
	;; [unrolled: 1-line block ×5, first 2 shown]
	v_add_f64_e64 v[44:45], v[44:45], -v[145:146]
	v_add_f64_e32 v[50:51], v[50:51], v[26:27]
	v_add_f64_e32 v[68:69], v[38:39], v[30:31]
	;; [unrolled: 1-line block ×14, first 2 shown]
	v_and_b32_e32 v44, 0xffff, v171
	s_delay_alu instid0(VALU_DEP_1)
	v_lshlrev_b32_e32 v44, 4, v44
	ds_store_b128 v44, v[16:19] offset:96
	ds_store_b128 v44, v[12:15] offset:112
	;; [unrolled: 1-line block ×8, first 2 shown]
	ds_store_b128 v44, v[32:35]
	ds_store_b128 v44, v[40:43] offset:16
	ds_store_b128 v44, v[0:3] offset:160
.LBB0_7:
	s_wait_alu 0xfffe
	s_or_b32 exec_lo, exec_lo, s6
	v_and_b32_e32 v24, 0xff, v170
	s_load_b128 s[0:3], s[2:3], 0x0
	global_wb scope:SCOPE_SE
	s_wait_dscnt 0x0
	s_wait_kmcnt 0x0
	s_barrier_signal -1
	s_barrier_wait -1
	v_mul_lo_u16 v24, 0x75, v24
	global_inv scope:SCOPE_SE
	s_mov_b32 s6, 0x134454ff
	s_mov_b32 s7, 0x3fee6f0e
	;; [unrolled: 1-line block ×3, first 2 shown]
	v_lshrrev_b16 v24, 8, v24
	s_wait_alu 0xfffe
	s_mov_b32 s10, s6
	s_mov_b32 s14, 0x4755a5e
	;; [unrolled: 1-line block ×4, first 2 shown]
	v_sub_nc_u16 v25, v170, v24
	s_wait_alu 0xfffe
	s_mov_b32 s16, s14
	s_mov_b32 s18, 0x372fe950
	;; [unrolled: 1-line block ×3, first 2 shown]
	v_lshrrev_b16 v25, 1, v25
	s_delay_alu instid0(VALU_DEP_1) | instskip(NEXT) | instid1(VALU_DEP_1)
	v_and_b32_e32 v25, 0x7f, v25
	v_add_nc_u16 v24, v25, v24
	s_delay_alu instid0(VALU_DEP_1) | instskip(NEXT) | instid1(VALU_DEP_1)
	v_lshrrev_b16 v93, 3, v24
	v_mul_lo_u16 v24, v93, 11
	s_delay_alu instid0(VALU_DEP_1) | instskip(NEXT) | instid1(VALU_DEP_1)
	v_sub_nc_u16 v24, v170, v24
	v_and_b32_e32 v94, 0xff, v24
	s_delay_alu instid0(VALU_DEP_1)
	v_lshlrev_b32_e32 v24, 6, v94
	s_clause 0x3
	global_load_b128 v[36:39], v24, s[4:5]
	global_load_b128 v[32:35], v24, s[4:5] offset:16
	global_load_b128 v[28:31], v24, s[4:5] offset:32
	;; [unrolled: 1-line block ×3, first 2 shown]
	ds_load_b128 v[40:43], v169 offset:880
	ds_load_b128 v[44:47], v169 offset:1760
	;; [unrolled: 1-line block ×4, first 2 shown]
	s_wait_loadcnt_dscnt 0x303
	v_mul_f64_e32 v[56:57], v[42:43], v[38:39]
	s_wait_loadcnt_dscnt 0x202
	v_mul_f64_e32 v[58:59], v[46:47], v[34:35]
	;; [unrolled: 2-line block ×4, first 2 shown]
	v_mul_f64_e32 v[66:67], v[44:45], v[34:35]
	v_mul_f64_e32 v[68:69], v[48:49], v[30:31]
	;; [unrolled: 1-line block ×4, first 2 shown]
	v_fma_f64 v[56:57], v[40:41], v[36:37], -v[56:57]
	v_fma_f64 v[44:45], v[44:45], v[32:33], -v[58:59]
	;; [unrolled: 1-line block ×4, first 2 shown]
	v_fma_f64 v[46:47], v[46:47], v[32:33], v[66:67]
	v_fma_f64 v[50:51], v[50:51], v[28:29], v[68:69]
	;; [unrolled: 1-line block ×4, first 2 shown]
	ds_load_b128 v[40:43], v169
	global_wb scope:SCOPE_SE
	s_wait_dscnt 0x0
	s_barrier_signal -1
	s_barrier_wait -1
	global_inv scope:SCOPE_SE
	v_add_f64_e32 v[68:69], v[40:41], v[56:57]
	v_add_f64_e32 v[60:61], v[44:45], v[48:49]
	;; [unrolled: 1-line block ×3, first 2 shown]
	v_add_f64_e64 v[77:78], v[56:57], -v[52:53]
	v_add_f64_e32 v[64:65], v[46:47], v[50:51]
	v_add_f64_e32 v[74:75], v[42:43], v[58:59]
	;; [unrolled: 1-line block ×3, first 2 shown]
	v_add_f64_e64 v[70:71], v[58:59], -v[54:55]
	v_add_f64_e64 v[72:73], v[46:47], -v[50:51]
	;; [unrolled: 1-line block ×8, first 2 shown]
	v_fma_f64 v[60:61], v[60:61], -0.5, v[40:41]
	v_fma_f64 v[40:41], v[62:63], -0.5, v[40:41]
	v_add_f64_e64 v[62:63], v[44:45], -v[48:49]
	v_fma_f64 v[64:65], v[64:65], -0.5, v[42:43]
	v_add_f64_e32 v[46:47], v[74:75], v[46:47]
	v_fma_f64 v[42:43], v[66:67], -0.5, v[42:43]
	v_add_f64_e64 v[66:67], v[56:57], -v[44:45]
	v_add_f64_e64 v[56:57], v[44:45], -v[56:57]
	v_add_f64_e32 v[44:45], v[68:69], v[44:45]
	v_add_f64_e32 v[58:59], v[58:59], v[87:88]
	v_fma_f64 v[68:69], v[70:71], s[6:7], v[60:61]
	v_fma_f64 v[60:61], v[70:71], s[10:11], v[60:61]
	;; [unrolled: 1-line block ×8, first 2 shown]
	v_add_f64_e32 v[44:45], v[44:45], v[48:49]
	v_add_f64_e32 v[46:47], v[46:47], v[50:51]
	;; [unrolled: 1-line block ×5, first 2 shown]
	v_fma_f64 v[48:49], v[72:73], s[14:15], v[68:69]
	s_wait_alu 0xfffe
	v_fma_f64 v[50:51], v[72:73], s[16:17], v[60:61]
	v_fma_f64 v[60:61], v[70:71], s[14:15], v[74:75]
	;; [unrolled: 1-line block ×7, first 2 shown]
	v_add_f64_e32 v[40:41], v[44:45], v[52:53]
	v_add_f64_e32 v[42:43], v[46:47], v[54:55]
	v_fma_f64 v[44:45], v[66:67], s[18:19], v[48:49]
	v_fma_f64 v[48:49], v[66:67], s[18:19], v[50:51]
	;; [unrolled: 1-line block ×8, first 2 shown]
	v_and_b32_e32 v60, 0xffff, v93
	v_lshlrev_b32_e32 v61, 6, v170
	s_delay_alu instid0(VALU_DEP_2) | instskip(NEXT) | instid1(VALU_DEP_1)
	v_mul_u32_u24_e32 v60, 55, v60
	v_add_lshl_u32 v77, v60, v94, 4
	ds_store_b128 v77, v[40:43]
	ds_store_b128 v77, v[44:47] offset:176
	ds_store_b128 v77, v[52:55] offset:352
	;; [unrolled: 1-line block ×4, first 2 shown]
	global_wb scope:SCOPE_SE
	s_wait_dscnt 0x0
	s_barrier_signal -1
	s_barrier_wait -1
	global_inv scope:SCOPE_SE
	s_clause 0x3
	global_load_b128 v[52:55], v61, s[4:5] offset:704
	global_load_b128 v[48:51], v61, s[4:5] offset:720
	;; [unrolled: 1-line block ×4, first 2 shown]
	ds_load_b128 v[56:59], v169 offset:880
	ds_load_b128 v[60:63], v169 offset:1760
	;; [unrolled: 1-line block ×4, first 2 shown]
	s_wait_loadcnt_dscnt 0x303
	v_mul_f64_e32 v[72:73], v[58:59], v[54:55]
	s_wait_loadcnt_dscnt 0x202
	v_mul_f64_e32 v[74:75], v[62:63], v[50:51]
	;; [unrolled: 2-line block ×3, first 2 shown]
	v_mul_f64_e32 v[80:81], v[56:57], v[54:55]
	s_wait_loadcnt_dscnt 0x0
	v_mul_f64_e32 v[82:83], v[70:71], v[42:43]
	v_mul_f64_e32 v[84:85], v[60:61], v[50:51]
	;; [unrolled: 1-line block ×4, first 2 shown]
	v_fma_f64 v[72:73], v[56:57], v[52:53], -v[72:73]
	v_fma_f64 v[60:61], v[60:61], v[48:49], -v[74:75]
	;; [unrolled: 1-line block ×3, first 2 shown]
	v_fma_f64 v[74:75], v[58:59], v[52:53], v[80:81]
	v_fma_f64 v[68:69], v[68:69], v[40:41], -v[82:83]
	v_fma_f64 v[62:63], v[62:63], v[48:49], v[84:85]
	v_fma_f64 v[66:67], v[66:67], v[44:45], v[86:87]
	;; [unrolled: 1-line block ×3, first 2 shown]
	ds_load_b128 v[56:59], v169
	s_wait_dscnt 0x0
	v_add_f64_e32 v[86:87], v[56:57], v[72:73]
	v_add_f64_e32 v[78:79], v[60:61], v[64:65]
	;; [unrolled: 1-line block ×4, first 2 shown]
	v_add_f64_e64 v[94:95], v[72:73], -v[68:69]
	v_add_f64_e32 v[82:83], v[62:63], v[66:67]
	v_add_f64_e32 v[84:85], v[74:75], v[70:71]
	v_add_f64_e64 v[88:89], v[74:75], -v[70:71]
	v_add_f64_e64 v[90:91], v[62:63], -v[66:67]
	;; [unrolled: 1-line block ×8, first 2 shown]
	v_fma_f64 v[78:79], v[78:79], -0.5, v[56:57]
	v_add_f64_e32 v[62:63], v[92:93], v[62:63]
	v_fma_f64 v[56:57], v[80:81], -0.5, v[56:57]
	v_add_f64_e64 v[80:81], v[60:61], -v[64:65]
	v_fma_f64 v[82:83], v[82:83], -0.5, v[58:59]
	v_fma_f64 v[58:59], v[84:85], -0.5, v[58:59]
	v_add_f64_e64 v[84:85], v[72:73], -v[60:61]
	v_add_f64_e64 v[72:73], v[60:61], -v[72:73]
	v_add_f64_e32 v[60:61], v[86:87], v[60:61]
	v_fma_f64 v[86:87], v[88:89], s[6:7], v[78:79]
	v_fma_f64 v[78:79], v[88:89], s[10:11], v[78:79]
	;; [unrolled: 1-line block ×8, first 2 shown]
	v_add_f64_e32 v[84:85], v[84:85], v[96:97]
	v_add_f64_e32 v[96:97], v[72:73], v[98:99]
	;; [unrolled: 1-line block ×6, first 2 shown]
	v_fma_f64 v[64:65], v[90:91], s[14:15], v[86:87]
	v_fma_f64 v[66:67], v[90:91], s[16:17], v[78:79]
	;; [unrolled: 1-line block ×8, first 2 shown]
	v_add_f64_e32 v[56:57], v[60:61], v[68:69]
	v_add_f64_e32 v[58:59], v[62:63], v[70:71]
	v_fma_f64 v[64:65], v[84:85], s[18:19], v[64:65]
	v_fma_f64 v[60:61], v[84:85], s[18:19], v[66:67]
	v_fma_f64 v[72:73], v[96:97], s[18:19], v[72:73]
	v_fma_f64 v[68:69], v[96:97], s[18:19], v[74:75]
	v_fma_f64 v[66:67], v[98:99], s[18:19], v[78:79]
	v_fma_f64 v[74:75], v[100:101], s[18:19], v[86:87]
	v_fma_f64 v[70:71], v[100:101], s[18:19], v[88:89]
	v_fma_f64 v[62:63], v[98:99], s[18:19], v[80:81]
	ds_store_b128 v169, v[56:59]
	ds_store_b128 v169, v[64:67] offset:880
	ds_store_b128 v169, v[72:75] offset:1760
	;; [unrolled: 1-line block ×4, first 2 shown]
	global_wb scope:SCOPE_SE
	s_wait_dscnt 0x0
	s_barrier_signal -1
	s_barrier_wait -1
	global_inv scope:SCOPE_SE
	s_and_saveexec_b32 s6, vcc_lo
	s_cbranch_execz .LBB0_9
; %bb.8:
	s_add_nc_u64 s[4:5], s[12:13], 0x1130
	s_clause 0xa
	global_load_b128 v[78:81], v169, s[12:13] offset:4400
	global_load_b128 v[82:85], v169, s[4:5] offset:400
	;; [unrolled: 1-line block ×11, first 2 shown]
	ds_load_b128 v[122:125], v169
	ds_load_b128 v[126:129], v169 offset:400
	ds_load_b128 v[130:133], v169 offset:800
	;; [unrolled: 1-line block ×10, first 2 shown]
	s_wait_loadcnt_dscnt 0xa0a
	v_mul_f64_e32 v[166:167], v[124:125], v[80:81]
	v_mul_f64_e32 v[80:81], v[122:123], v[80:81]
	s_wait_loadcnt_dscnt 0x909
	v_mul_f64_e32 v[172:173], v[128:129], v[84:85]
	v_mul_f64_e32 v[84:85], v[126:127], v[84:85]
	s_wait_loadcnt_dscnt 0x808
	v_mul_f64_e32 v[174:175], v[132:133], v[88:89]
	v_mul_f64_e32 v[88:89], v[130:131], v[88:89]
	s_wait_loadcnt_dscnt 0x707
	v_mul_f64_e32 v[176:177], v[136:137], v[92:93]
	v_mul_f64_e32 v[92:93], v[134:135], v[92:93]
	s_wait_loadcnt_dscnt 0x606
	v_mul_f64_e32 v[178:179], v[140:141], v[96:97]
	v_mul_f64_e32 v[96:97], v[138:139], v[96:97]
	s_wait_loadcnt_dscnt 0x505
	v_mul_f64_e32 v[180:181], v[144:145], v[100:101]
	v_mul_f64_e32 v[100:101], v[142:143], v[100:101]
	s_wait_loadcnt_dscnt 0x404
	v_mul_f64_e32 v[182:183], v[148:149], v[104:105]
	v_mul_f64_e32 v[104:105], v[146:147], v[104:105]
	s_wait_loadcnt_dscnt 0x303
	v_mul_f64_e32 v[184:185], v[152:153], v[108:109]
	v_mul_f64_e32 v[108:109], v[150:151], v[108:109]
	s_wait_loadcnt_dscnt 0x202
	v_mul_f64_e32 v[186:187], v[156:157], v[112:113]
	v_mul_f64_e32 v[112:113], v[154:155], v[112:113]
	s_wait_loadcnt_dscnt 0x101
	v_mul_f64_e32 v[188:189], v[160:161], v[116:117]
	v_mul_f64_e32 v[116:117], v[158:159], v[116:117]
	s_wait_loadcnt_dscnt 0x0
	v_mul_f64_e32 v[190:191], v[164:165], v[120:121]
	v_mul_f64_e32 v[192:193], v[162:163], v[120:121]
	v_fma_f64 v[120:121], v[122:123], v[78:79], -v[166:167]
	v_fma_f64 v[122:123], v[124:125], v[78:79], v[80:81]
	v_fma_f64 v[78:79], v[126:127], v[82:83], -v[172:173]
	v_fma_f64 v[80:81], v[128:129], v[82:83], v[84:85]
	;; [unrolled: 2-line block ×11, first 2 shown]
	ds_store_b128 v169, v[120:123]
	ds_store_b128 v169, v[78:81] offset:400
	ds_store_b128 v169, v[82:85] offset:800
	;; [unrolled: 1-line block ×10, first 2 shown]
.LBB0_9:
	s_wait_alu 0xfffe
	s_or_b32 exec_lo, exec_lo, s6
	global_wb scope:SCOPE_SE
	s_wait_dscnt 0x0
	s_barrier_signal -1
	s_barrier_wait -1
	global_inv scope:SCOPE_SE
	s_and_saveexec_b32 s4, vcc_lo
	s_cbranch_execz .LBB0_11
; %bb.10:
	ds_load_b128 v[56:59], v169
	ds_load_b128 v[64:67], v169 offset:400
	ds_load_b128 v[72:75], v169 offset:800
	;; [unrolled: 1-line block ×10, first 2 shown]
.LBB0_11:
	s_wait_alu 0xfffe
	s_or_b32 exec_lo, exec_lo, s4
	global_wb scope:SCOPE_SE
	s_wait_dscnt 0x0
	s_barrier_signal -1
	s_barrier_wait -1
	global_inv scope:SCOPE_SE
	s_and_saveexec_b32 s18, vcc_lo
	s_cbranch_execz .LBB0_13
; %bb.12:
	v_add_f64_e32 v[78:79], v[58:59], v[66:67]
	v_add_f64_e32 v[80:81], v[56:57], v[64:65]
	v_add_f64_e64 v[94:95], v[64:65], -v[0:1]
	v_add_f64_e64 v[104:105], v[66:67], -v[2:3]
	;; [unrolled: 1-line block ×8, first 2 shown]
	v_add_f64_e32 v[106:107], v[70:71], v[10:11]
	v_add_f64_e32 v[112:113], v[68:69], v[8:9]
	s_mov_b32 s28, 0xfd768dbf
	s_mov_b32 s29, 0xbfd207e7
	v_add_f64_e64 v[92:93], v[72:73], -v[4:5]
	v_add_f64_e64 v[102:103], v[74:75], -v[6:7]
	v_add_f64_e32 v[66:67], v[66:67], v[2:3]
	v_add_f64_e32 v[64:65], v[64:65], v[0:1]
	s_mov_b32 s20, 0x43842ef
	s_mov_b32 s21, 0xbfefac9e
	;; [unrolled: 1-line block ×7, first 2 shown]
	s_wait_alu 0xfffe
	s_mov_b32 s30, s26
	v_add_f64_e32 v[88:89], v[62:63], v[14:15]
	v_add_f64_e32 v[110:111], v[60:61], v[12:13]
	s_mov_b32 s14, 0x7f775887
	s_mov_b32 s6, 0x9bcd5057
	;; [unrolled: 1-line block ×10, first 2 shown]
	v_add_f64_e32 v[78:79], v[78:79], v[74:75]
	v_add_f64_e32 v[80:81], v[80:81], v[72:73]
	v_mul_f64_e32 v[122:123], s[28:29], v[94:95]
	v_mul_f64_e32 v[132:133], s[28:29], v[104:105]
	;; [unrolled: 1-line block ×10, first 2 shown]
	s_wait_alu 0xfffe
	v_mul_f64_e32 v[190:191], s[30:31], v[94:95]
	v_mul_f64_e32 v[192:193], s[30:31], v[104:105]
	v_add_f64_e32 v[74:75], v[74:75], v[6:7]
	v_add_f64_e32 v[72:73], v[72:73], v[4:5]
	v_mul_f64_e32 v[120:121], s[26:27], v[92:93]
	v_mul_f64_e32 v[130:131], s[26:27], v[102:103]
	;; [unrolled: 1-line block ×8, first 2 shown]
	s_mov_b32 s4, 0xd9c712b6
	s_mov_b32 s11, 0x3feaeb8c
	s_mov_b32 s5, 0x3fda9628
	v_add_f64_e32 v[84:85], v[22:23], v[18:19]
	v_add_f64_e32 v[108:109], v[20:21], v[16:17]
	v_mul_f64_e32 v[138:139], s[30:31], v[90:91]
	v_mul_f64_e32 v[144:145], s[30:31], v[100:101]
	;; [unrolled: 1-line block ×9, first 2 shown]
	v_add_f64_e32 v[70:71], v[78:79], v[70:71]
	v_add_f64_e32 v[68:69], v[80:81], v[68:69]
	v_mul_f64_e32 v[78:79], s[24:25], v[94:95]
	v_mul_f64_e32 v[80:81], s[22:23], v[96:97]
	s_mov_b32 s23, 0xbfed1bb4
	v_fma_f64 v[198:199], v[66:67], s[6:7], v[122:123]
	s_wait_alu 0xfffe
	v_mul_f64_e32 v[94:95], s[22:23], v[94:95]
	v_mul_f64_e32 v[104:105], s[22:23], v[104:105]
	;; [unrolled: 1-line block ×3, first 2 shown]
	v_fma_f64 v[208:209], v[64:65], s[6:7], -v[132:133]
	v_fma_f64 v[212:213], v[64:65], s[14:15], -v[148:149]
	v_fma_f64 v[148:149], v[64:65], s[14:15], v[148:149]
	v_fma_f64 v[122:123], v[66:67], s[6:7], -v[122:123]
	v_fma_f64 v[132:133], v[64:65], s[6:7], v[132:133]
	v_fma_f64 v[214:215], v[66:67], s[16:17], v[158:159]
	v_fma_f64 v[216:217], v[64:65], s[16:17], -v[172:173]
	v_fma_f64 v[158:159], v[66:67], s[16:17], -v[158:159]
	v_fma_f64 v[172:173], v[64:65], s[16:17], v[172:173]
	v_fma_f64 v[218:219], v[66:67], s[10:11], v[190:191]
	v_fma_f64 v[190:191], v[66:67], s[10:11], -v[190:191]
	v_fma_f64 v[220:221], v[64:65], s[10:11], v[192:193]
	v_fma_f64 v[196:197], v[74:75], s[10:11], v[120:121]
	v_fma_f64 v[206:207], v[72:73], s[10:11], -v[130:131]
	v_fma_f64 v[120:121], v[74:75], s[10:11], -v[120:121]
	v_fma_f64 v[130:131], v[72:73], s[10:11], v[130:131]
	v_fma_f64 v[226:227], v[74:75], s[14:15], v[180:181]
	v_fma_f64 v[228:229], v[72:73], s[14:15], -v[188:189]
	v_fma_f64 v[180:181], v[74:75], s[14:15], -v[180:181]
	v_fma_f64 v[188:189], v[72:73], s[14:15], v[188:189]
	v_mul_f64_e32 v[142:143], s[28:29], v[98:99]
	v_mul_f64_e32 v[152:153], s[30:31], v[86:87]
	;; [unrolled: 1-line block ×7, first 2 shown]
	v_fma_f64 v[194:195], v[106:107], s[14:15], v[118:119]
	v_fma_f64 v[204:205], v[112:113], s[14:15], -v[128:129]
	v_add_f64_e32 v[62:63], v[70:71], v[62:63]
	v_add_f64_e32 v[60:61], v[68:69], v[60:61]
	v_mul_f64_e32 v[68:69], s[22:23], v[102:103]
	v_fma_f64 v[210:211], v[66:67], s[14:15], v[78:79]
	v_fma_f64 v[78:79], v[66:67], s[14:15], -v[78:79]
	v_fma_f64 v[118:119], v[106:107], s[14:15], -v[118:119]
	;; [unrolled: 1-line block ×3, first 2 shown]
	v_fma_f64 v[224:225], v[64:65], s[4:5], v[104:105]
	v_fma_f64 v[66:67], v[66:67], s[4:5], v[94:95]
	v_fma_f64 v[94:95], v[64:65], s[4:5], -v[104:105]
	v_fma_f64 v[104:105], v[74:75], s[16:17], -v[140:141]
	v_fma_f64 v[230:231], v[74:75], s[4:5], v[92:93]
	v_add_f64_e32 v[148:149], v[56:57], v[148:149]
	v_add_f64_e32 v[122:123], v[58:59], v[122:123]
	;; [unrolled: 1-line block ×3, first 2 shown]
	v_fma_f64 v[128:129], v[112:113], s[14:15], v[128:129]
	v_add_f64_e32 v[158:159], v[58:59], v[158:159]
	v_add_f64_e32 v[172:173], v[56:57], v[172:173]
	v_fma_f64 v[234:235], v[106:107], s[16:17], v[90:91]
	v_add_f64_e32 v[190:191], v[58:59], v[190:191]
	v_fma_f64 v[236:237], v[112:113], s[16:17], -v[100:101]
	v_fma_f64 v[90:91], v[106:107], s[16:17], -v[90:91]
	v_fma_f64 v[100:101], v[112:113], s[16:17], v[100:101]
	v_mul_f64_e32 v[114:115], s[20:21], v[82:83]
	v_mul_f64_e32 v[124:125], s[20:21], v[96:97]
	;; [unrolled: 1-line block ×8, first 2 shown]
	v_fma_f64 v[102:103], v[88:89], s[4:5], v[116:117]
	v_fma_f64 v[202:203], v[110:111], s[4:5], -v[126:127]
	v_fma_f64 v[116:117], v[88:89], s[4:5], -v[116:117]
	v_fma_f64 v[126:127], v[110:111], s[4:5], v[126:127]
	v_add_f64_e32 v[22:23], v[62:63], v[22:23]
	v_add_f64_e32 v[20:21], v[60:61], v[20:21]
	v_fma_f64 v[60:61], v[64:65], s[10:11], -v[192:193]
	v_fma_f64 v[62:63], v[74:75], s[16:17], v[140:141]
	v_fma_f64 v[64:65], v[72:73], s[16:17], -v[146:147]
	v_fma_f64 v[140:141], v[72:73], s[16:17], v[146:147]
	v_fma_f64 v[146:147], v[74:75], s[6:7], v[156:157]
	v_fma_f64 v[192:193], v[72:73], s[6:7], -v[166:167]
	v_fma_f64 v[156:157], v[74:75], s[6:7], -v[156:157]
	v_fma_f64 v[166:167], v[72:73], s[6:7], v[166:167]
	v_fma_f64 v[232:233], v[72:73], s[4:5], -v[68:69]
	v_fma_f64 v[74:75], v[74:75], s[4:5], -v[92:93]
	v_fma_f64 v[68:69], v[72:73], s[4:5], v[68:69]
	v_add_f64_e32 v[72:73], v[58:59], v[198:199]
	v_add_f64_e32 v[92:93], v[56:57], v[208:209]
	v_add_f64_e32 v[198:199], v[58:59], v[210:211]
	v_add_f64_e32 v[208:209], v[56:57], v[212:213]
	v_add_f64_e32 v[78:79], v[58:59], v[78:79]
	v_add_f64_e32 v[210:211], v[58:59], v[214:215]
	v_add_f64_e32 v[212:213], v[56:57], v[216:217]
	v_add_f64_e32 v[216:217], v[56:57], v[220:221]
	v_add_f64_e32 v[214:215], v[58:59], v[218:219]
	v_add_f64_e32 v[218:219], v[58:59], v[222:223]
	v_add_f64_e32 v[220:221], v[56:57], v[224:225]
	v_add_f64_e32 v[58:59], v[58:59], v[66:67]
	v_add_f64_e32 v[66:67], v[56:57], v[94:95]
	v_fma_f64 v[94:95], v[112:113], s[10:11], v[144:145]
	v_fma_f64 v[222:223], v[106:107], s[6:7], v[178:179]
	v_fma_f64 v[224:225], v[112:113], s[6:7], -v[186:187]
	v_fma_f64 v[178:179], v[106:107], s[6:7], -v[178:179]
	v_fma_f64 v[186:187], v[112:113], s[6:7], v[186:187]
	v_fma_f64 v[70:71], v[84:85], s[16:17], v[114:115]
	v_fma_f64 v[200:201], v[108:109], s[16:17], -v[124:125]
	v_fma_f64 v[114:115], v[84:85], s[16:17], -v[114:115]
	v_fma_f64 v[124:125], v[108:109], s[16:17], v[124:125]
	v_add_f64_e32 v[18:19], v[22:23], v[18:19]
	v_add_f64_e32 v[16:17], v[20:21], v[16:17]
	;; [unrolled: 1-line block ×3, first 2 shown]
	v_fma_f64 v[22:23], v[106:107], s[10:11], v[138:139]
	v_fma_f64 v[56:57], v[112:113], s[10:11], -v[144:145]
	v_fma_f64 v[60:61], v[106:107], s[10:11], -v[138:139]
	v_fma_f64 v[138:139], v[106:107], s[4:5], v[154:155]
	v_fma_f64 v[144:145], v[112:113], s[4:5], -v[164:165]
	v_fma_f64 v[154:155], v[106:107], s[4:5], -v[154:155]
	v_fma_f64 v[164:165], v[112:113], s[4:5], v[164:165]
	v_add_f64_e32 v[106:107], v[120:121], v[122:123]
	v_add_f64_e32 v[112:113], v[130:131], v[132:133]
	;; [unrolled: 1-line block ×19, first 2 shown]
	v_fma_f64 v[156:157], v[88:89], s[10:11], v[152:153]
	v_fma_f64 v[152:153], v[88:89], s[10:11], -v[152:153]
	v_fma_f64 v[166:167], v[88:89], s[16:17], v[176:177]
	v_fma_f64 v[172:173], v[110:111], s[16:17], -v[184:185]
	v_fma_f64 v[176:177], v[88:89], s[16:17], -v[176:177]
	v_fma_f64 v[180:181], v[110:111], s[16:17], v[184:185]
	v_fma_f64 v[184:185], v[88:89], s[14:15], v[86:87]
	v_fma_f64 v[188:189], v[110:111], s[14:15], -v[98:99]
	v_fma_f64 v[86:87], v[88:89], s[14:15], -v[86:87]
	v_add_f64_e32 v[14:15], v[18:19], v[14:15]
	v_add_f64_e32 v[12:13], v[16:17], v[12:13]
	;; [unrolled: 1-line block ×3, first 2 shown]
	v_fma_f64 v[18:19], v[88:89], s[6:7], v[136:137]
	v_fma_f64 v[20:21], v[110:111], s[6:7], -v[142:143]
	v_fma_f64 v[136:137], v[88:89], s[6:7], -v[136:137]
	v_fma_f64 v[142:143], v[110:111], s[6:7], v[142:143]
	v_fma_f64 v[88:89], v[110:111], s[14:15], v[98:99]
	v_fma_f64 v[158:159], v[110:111], s[10:11], -v[162:163]
	v_fma_f64 v[162:163], v[110:111], s[10:11], v[162:163]
	v_add_f64_e32 v[98:99], v[118:119], v[106:107]
	v_add_f64_e32 v[106:107], v[128:129], v[112:113]
	v_fma_f64 v[112:113], v[84:85], s[4:5], -v[134:135]
	v_add_f64_e32 v[72:73], v[194:195], v[72:73]
	v_add_f64_e32 v[92:93], v[204:205], v[92:93]
	;; [unrolled: 1-line block ×17, first 2 shown]
	v_fma_f64 v[118:119], v[84:85], s[14:15], v[150:151]
	v_fma_f64 v[122:123], v[84:85], s[14:15], -v[150:151]
	v_fma_f64 v[130:131], v[84:85], s[10:11], v[174:175]
	v_fma_f64 v[140:141], v[84:85], s[6:7], v[82:83]
	v_fma_f64 v[144:145], v[108:109], s[6:7], -v[96:97]
	v_fma_f64 v[82:83], v[84:85], s[6:7], -v[82:83]
	v_fma_f64 v[128:129], v[108:109], s[14:15], v[160:161]
	v_fma_f64 v[120:121], v[108:109], s[14:15], -v[160:161]
	v_add_f64_e32 v[10:11], v[14:15], v[10:11]
	v_add_f64_e32 v[8:9], v[12:13], v[8:9]
	;; [unrolled: 1-line block ×3, first 2 shown]
	v_fma_f64 v[14:15], v[84:85], s[4:5], v[134:135]
	v_fma_f64 v[16:17], v[108:109], s[4:5], -v[80:81]
	v_fma_f64 v[80:81], v[108:109], s[4:5], v[80:81]
	v_fma_f64 v[134:135], v[84:85], s[10:11], -v[174:175]
	v_fma_f64 v[84:85], v[108:109], s[6:7], v[96:97]
	v_fma_f64 v[138:139], v[108:109], s[10:11], v[182:183]
	v_fma_f64 v[132:133], v[108:109], s[10:11], -v[182:183]
	v_add_f64_e32 v[96:97], v[116:117], v[98:99]
	v_add_f64_e32 v[98:99], v[126:127], v[106:107]
	v_add_f64_e32 v[72:73], v[102:103], v[72:73]
	v_add_f64_e32 v[92:93], v[202:203], v[92:93]
	v_add_f64_e32 v[18:19], v[18:19], v[22:23]
	v_add_f64_e32 v[20:21], v[20:21], v[56:57]
	v_add_f64_e32 v[22:23], v[136:137], v[60:61]
	v_add_f64_e32 v[56:57], v[142:143], v[62:63]
	v_add_f64_e32 v[60:61], v[156:157], v[64:65]
	v_add_f64_e32 v[62:63], v[158:159], v[78:79]
	v_add_f64_e32 v[64:65], v[152:153], v[94:95]
	v_add_f64_e32 v[78:79], v[162:163], v[104:105]
	v_add_f64_e32 v[74:75], v[86:87], v[74:75]
	v_add_f64_e32 v[68:69], v[88:89], v[68:69]
	v_add_f64_e32 v[86:87], v[176:177], v[90:91]
	v_add_f64_e32 v[88:89], v[180:181], v[100:101]
	v_add_f64_e32 v[90:91], v[166:167], v[58:59]
	v_add_f64_e32 v[100:101], v[172:173], v[66:67]
	v_add_f64_e32 v[94:95], v[184:185], v[110:111]
	v_add_f64_e32 v[102:103], v[10:11], v[6:7]
	v_add_f64_e32 v[104:105], v[8:9], v[4:5]
	v_add_f64_e32 v[106:107], v[188:189], v[12:13]
	v_add_f64_e32 v[10:11], v[114:115], v[96:97]
	v_add_f64_e32 v[8:9], v[124:125], v[98:99]
	v_add_f64_e32 v[6:7], v[70:71], v[72:73]
	v_add_f64_e32 v[4:5], v[200:201], v[92:93]
	v_add_f64_e32 v[14:15], v[14:15], v[18:19]
	v_add_f64_e32 v[12:13], v[16:17], v[20:21]
	v_add_f64_e32 v[18:19], v[112:113], v[22:23]
	v_add_f64_e32 v[16:17], v[80:81], v[56:57]
	v_add_f64_e32 v[22:23], v[118:119], v[60:61]
	v_add_f64_e32 v[20:21], v[120:121], v[62:63]
	v_add_f64_e32 v[58:59], v[122:123], v[64:65]
	v_add_f64_e32 v[56:57], v[128:129], v[78:79]
	v_add_f64_e32 v[66:67], v[82:83], v[74:75]
	v_add_f64_e32 v[64:65], v[84:85], v[68:69]
	v_add_f64_e32 v[70:71], v[134:135], v[86:87]
	v_add_f64_e32 v[68:69], v[138:139], v[88:89]
	v_add_f64_e32 v[74:75], v[130:131], v[90:91]
	v_add_f64_e32 v[72:73], v[132:133], v[100:101]
	v_add_f64_e32 v[62:63], v[140:141], v[94:95]
	v_and_b32_e32 v78, 0xffff, v171
	s_delay_alu instid0(VALU_DEP_1)
	v_lshlrev_b32_e32 v78, 4, v78
	v_add_f64_e32 v[2:3], v[102:103], v[2:3]
	v_add_f64_e32 v[0:1], v[104:105], v[0:1]
	;; [unrolled: 1-line block ×3, first 2 shown]
	ds_store_b128 v78, v[16:19] offset:64
	ds_store_b128 v78, v[8:11] offset:80
	;; [unrolled: 1-line block ×9, first 2 shown]
	ds_store_b128 v78, v[0:3]
	ds_store_b128 v78, v[60:63] offset:160
.LBB0_13:
	s_wait_alu 0xfffe
	s_or_b32 exec_lo, exec_lo, s18
	global_wb scope:SCOPE_SE
	s_wait_dscnt 0x0
	s_barrier_signal -1
	s_barrier_wait -1
	global_inv scope:SCOPE_SE
	ds_load_b128 v[0:3], v169 offset:880
	ds_load_b128 v[4:7], v169 offset:1760
	;; [unrolled: 1-line block ×4, first 2 shown]
	s_mov_b32 s4, 0x134454ff
	s_mov_b32 s5, 0xbfee6f0e
	;; [unrolled: 1-line block ×3, first 2 shown]
	s_wait_alu 0xfffe
	s_mov_b32 s6, s4
	s_mov_b32 s10, 0x4755a5e
	;; [unrolled: 1-line block ×4, first 2 shown]
	s_wait_alu 0xfffe
	s_mov_b32 s14, s10
	s_mov_b32 s16, 0x372fe950
	;; [unrolled: 1-line block ×3, first 2 shown]
	s_wait_dscnt 0x3
	v_mul_f64_e32 v[16:17], v[38:39], v[2:3]
	s_wait_dscnt 0x2
	v_mul_f64_e32 v[18:19], v[34:35], v[6:7]
	;; [unrolled: 2-line block ×3, first 2 shown]
	v_mul_f64_e32 v[22:23], v[38:39], v[0:1]
	s_wait_dscnt 0x0
	v_mul_f64_e32 v[38:39], v[26:27], v[14:15]
	v_mul_f64_e32 v[34:35], v[34:35], v[4:5]
	;; [unrolled: 1-line block ×4, first 2 shown]
	v_fma_f64 v[16:17], v[36:37], v[0:1], v[16:17]
	v_fma_f64 v[4:5], v[32:33], v[4:5], v[18:19]
	;; [unrolled: 1-line block ×3, first 2 shown]
	v_fma_f64 v[18:19], v[36:37], v[2:3], -v[22:23]
	v_fma_f64 v[12:13], v[24:25], v[12:13], v[38:39]
	v_fma_f64 v[6:7], v[32:33], v[6:7], -v[34:35]
	v_fma_f64 v[10:11], v[28:29], v[10:11], -v[30:31]
	;; [unrolled: 1-line block ×3, first 2 shown]
	ds_load_b128 v[0:3], v169
	global_wb scope:SCOPE_SE
	s_wait_dscnt 0x0
	s_barrier_signal -1
	s_barrier_wait -1
	global_inv scope:SCOPE_SE
	v_add_f64_e32 v[28:29], v[0:1], v[16:17]
	v_add_f64_e32 v[20:21], v[4:5], v[8:9]
	v_add_f64_e32 v[34:35], v[2:3], v[18:19]
	v_add_f64_e32 v[22:23], v[16:17], v[12:13]
	v_add_f64_e64 v[36:37], v[16:17], -v[12:13]
	v_add_f64_e32 v[24:25], v[6:7], v[10:11]
	v_add_f64_e32 v[26:27], v[18:19], v[14:15]
	v_add_f64_e64 v[30:31], v[18:19], -v[14:15]
	v_add_f64_e64 v[32:33], v[6:7], -v[10:11]
	;; [unrolled: 1-line block ×8, first 2 shown]
	v_fma_f64 v[20:21], v[20:21], -0.5, v[0:1]
	v_add_f64_e32 v[6:7], v[34:35], v[6:7]
	v_fma_f64 v[0:1], v[22:23], -0.5, v[0:1]
	v_add_f64_e64 v[22:23], v[4:5], -v[8:9]
	v_fma_f64 v[24:25], v[24:25], -0.5, v[2:3]
	v_fma_f64 v[2:3], v[26:27], -0.5, v[2:3]
	v_add_f64_e64 v[26:27], v[16:17], -v[4:5]
	v_add_f64_e64 v[16:17], v[4:5], -v[16:17]
	v_add_f64_e32 v[4:5], v[28:29], v[4:5]
	v_add_f64_e32 v[18:19], v[18:19], v[62:63]
	v_fma_f64 v[28:29], v[30:31], s[4:5], v[20:21]
	v_fma_f64 v[20:21], v[30:31], s[6:7], v[20:21]
	;; [unrolled: 1-line block ×8, first 2 shown]
	v_add_f64_e32 v[4:5], v[4:5], v[8:9]
	v_add_f64_e32 v[6:7], v[6:7], v[10:11]
	;; [unrolled: 1-line block ×5, first 2 shown]
	v_fma_f64 v[8:9], v[32:33], s[10:11], v[28:29]
	s_wait_alu 0xfffe
	v_fma_f64 v[10:11], v[32:33], s[14:15], v[20:21]
	v_fma_f64 v[20:21], v[30:31], s[10:11], v[34:35]
	;; [unrolled: 1-line block ×7, first 2 shown]
	v_add_f64_e32 v[0:1], v[4:5], v[12:13]
	v_add_f64_e32 v[2:3], v[6:7], v[14:15]
	v_fma_f64 v[4:5], v[26:27], s[16:17], v[8:9]
	v_fma_f64 v[8:9], v[26:27], s[16:17], v[10:11]
	v_fma_f64 v[12:13], v[16:17], s[16:17], v[20:21]
	v_fma_f64 v[16:17], v[16:17], s[16:17], v[28:29]
	v_fma_f64 v[6:7], v[38:39], s[16:17], v[30:31]
	v_fma_f64 v[14:15], v[18:19], s[16:17], v[32:33]
	v_fma_f64 v[18:19], v[18:19], s[16:17], v[34:35]
	v_fma_f64 v[10:11], v[38:39], s[16:17], v[22:23]
	ds_store_b128 v77, v[0:3]
	ds_store_b128 v77, v[4:7] offset:176
	ds_store_b128 v77, v[12:15] offset:352
	;; [unrolled: 1-line block ×4, first 2 shown]
	global_wb scope:SCOPE_SE
	s_wait_dscnt 0x0
	s_barrier_signal -1
	s_barrier_wait -1
	global_inv scope:SCOPE_SE
	ds_load_b128 v[0:3], v169 offset:880
	ds_load_b128 v[4:7], v169 offset:1760
	;; [unrolled: 1-line block ×4, first 2 shown]
	s_wait_dscnt 0x3
	v_mul_f64_e32 v[16:17], v[54:55], v[2:3]
	s_wait_dscnt 0x2
	v_mul_f64_e32 v[18:19], v[50:51], v[6:7]
	;; [unrolled: 2-line block ×4, first 2 shown]
	v_mul_f64_e32 v[26:27], v[50:51], v[4:5]
	v_mul_f64_e32 v[28:29], v[46:47], v[8:9]
	;; [unrolled: 1-line block ×4, first 2 shown]
	v_fma_f64 v[16:17], v[52:53], v[0:1], v[16:17]
	v_fma_f64 v[4:5], v[48:49], v[4:5], v[18:19]
	;; [unrolled: 1-line block ×4, first 2 shown]
	v_fma_f64 v[6:7], v[48:49], v[6:7], -v[26:27]
	v_fma_f64 v[10:11], v[44:45], v[10:11], -v[28:29]
	;; [unrolled: 1-line block ×4, first 2 shown]
	ds_load_b128 v[0:3], v169
	s_wait_dscnt 0x0
	v_add_f64_e32 v[28:29], v[0:1], v[16:17]
	v_add_f64_e32 v[20:21], v[4:5], v[8:9]
	;; [unrolled: 1-line block ×3, first 2 shown]
	v_add_f64_e64 v[36:37], v[16:17], -v[12:13]
	v_add_f64_e32 v[24:25], v[6:7], v[10:11]
	v_add_f64_e32 v[34:35], v[2:3], v[18:19]
	;; [unrolled: 1-line block ×3, first 2 shown]
	v_add_f64_e64 v[30:31], v[18:19], -v[14:15]
	v_add_f64_e64 v[32:33], v[6:7], -v[10:11]
	;; [unrolled: 1-line block ×8, first 2 shown]
	v_fma_f64 v[20:21], v[20:21], -0.5, v[0:1]
	v_fma_f64 v[0:1], v[22:23], -0.5, v[0:1]
	v_add_f64_e64 v[22:23], v[4:5], -v[8:9]
	v_fma_f64 v[24:25], v[24:25], -0.5, v[2:3]
	v_add_f64_e32 v[6:7], v[34:35], v[6:7]
	v_fma_f64 v[2:3], v[26:27], -0.5, v[2:3]
	v_add_f64_e64 v[26:27], v[16:17], -v[4:5]
	v_add_f64_e64 v[16:17], v[4:5], -v[16:17]
	v_add_f64_e32 v[4:5], v[28:29], v[4:5]
	v_add_f64_e32 v[18:19], v[18:19], v[46:47]
	v_fma_f64 v[28:29], v[30:31], s[4:5], v[20:21]
	v_fma_f64 v[20:21], v[30:31], s[6:7], v[20:21]
	;; [unrolled: 1-line block ×8, first 2 shown]
	v_add_f64_e32 v[4:5], v[4:5], v[8:9]
	v_add_f64_e32 v[6:7], v[6:7], v[10:11]
	;; [unrolled: 1-line block ×5, first 2 shown]
	v_fma_f64 v[8:9], v[32:33], s[10:11], v[28:29]
	v_fma_f64 v[10:11], v[32:33], s[14:15], v[20:21]
	;; [unrolled: 1-line block ×8, first 2 shown]
	v_add_f64_e32 v[0:1], v[4:5], v[12:13]
	v_add_f64_e32 v[2:3], v[6:7], v[14:15]
	v_fma_f64 v[4:5], v[26:27], s[16:17], v[8:9]
	v_fma_f64 v[8:9], v[26:27], s[16:17], v[10:11]
	;; [unrolled: 1-line block ×8, first 2 shown]
	ds_store_b128 v169, v[0:3]
	ds_store_b128 v169, v[4:7] offset:880
	ds_store_b128 v169, v[12:15] offset:1760
	;; [unrolled: 1-line block ×4, first 2 shown]
	global_wb scope:SCOPE_SE
	s_wait_dscnt 0x0
	s_barrier_signal -1
	s_barrier_wait -1
	global_inv scope:SCOPE_SE
	s_and_b32 exec_lo, exec_lo, vcc_lo
	s_cbranch_execz .LBB0_15
; %bb.14:
	s_clause 0xa
	global_load_b128 v[0:3], v169, s[12:13]
	global_load_b128 v[4:7], v169, s[12:13] offset:400
	global_load_b128 v[8:11], v169, s[12:13] offset:800
	;; [unrolled: 1-line block ×10, first 2 shown]
	v_mad_co_u64_u32 v[88:89], null, s2, v76, 0
	v_mad_co_u64_u32 v[90:91], null, s0, v170, 0
	ds_load_b128 v[44:47], v169
	ds_load_b128 v[48:51], v169 offset:400
	ds_load_b128 v[52:55], v169 offset:800
	;; [unrolled: 1-line block ×3, first 2 shown]
	v_mov_b32_e32 v60, v89
	v_mov_b32_e32 v68, v91
	s_delay_alu instid0(VALU_DEP_2)
	v_mad_co_u64_u32 v[76:77], null, s3, v76, v[60:61]
	ds_load_b128 v[60:63], v169 offset:1600
	ds_load_b128 v[64:67], v169 offset:2000
	v_mad_co_u64_u32 v[91:92], null, s1, v170, v[68:69]
	ds_load_b128 v[68:71], v169 offset:2400
	ds_load_b128 v[72:75], v169 offset:2800
	s_mul_u64 s[0:1], s[0:1], 0x190
	s_mov_b32 s2, 0xdca01dca
	v_mov_b32_e32 v89, v76
	ds_load_b128 v[76:79], v169 offset:3200
	ds_load_b128 v[80:83], v169 offset:3600
	;; [unrolled: 1-line block ×3, first 2 shown]
	s_mov_b32 s3, 0x3f6dca01
	v_lshlrev_b64_e32 v[90:91], 4, v[90:91]
	v_lshlrev_b64_e32 v[88:89], 4, v[88:89]
	s_delay_alu instid0(VALU_DEP_1) | instskip(NEXT) | instid1(VALU_DEP_2)
	v_add_co_u32 v88, vcc_lo, s8, v88
	v_add_co_ci_u32_e32 v89, vcc_lo, s9, v89, vcc_lo
	s_delay_alu instid0(VALU_DEP_2) | instskip(SKIP_1) | instid1(VALU_DEP_2)
	v_add_co_u32 v88, vcc_lo, v88, v90
	s_wait_alu 0xfffd
	v_add_co_ci_u32_e32 v89, vcc_lo, v89, v91, vcc_lo
	s_wait_alu 0xfffe
	s_delay_alu instid0(VALU_DEP_2) | instskip(SKIP_1) | instid1(VALU_DEP_2)
	v_add_co_u32 v90, vcc_lo, v88, s0
	s_wait_alu 0xfffd
	v_add_co_ci_u32_e32 v91, vcc_lo, s1, v89, vcc_lo
	s_wait_loadcnt_dscnt 0xa0a
	v_mul_f64_e32 v[92:93], v[46:47], v[2:3]
	v_mul_f64_e32 v[2:3], v[44:45], v[2:3]
	s_wait_loadcnt_dscnt 0x909
	v_mul_f64_e32 v[94:95], v[50:51], v[6:7]
	v_mul_f64_e32 v[6:7], v[48:49], v[6:7]
	;; [unrolled: 3-line block ×11, first 2 shown]
	v_fma_f64 v[44:45], v[44:45], v[0:1], v[92:93]
	v_fma_f64 v[2:3], v[0:1], v[46:47], -v[2:3]
	v_fma_f64 v[46:47], v[48:49], v[4:5], v[94:95]
	v_fma_f64 v[6:7], v[4:5], v[50:51], -v[6:7]
	;; [unrolled: 2-line block ×11, first 2 shown]
	v_add_co_u32 v66, vcc_lo, v90, s0
	s_wait_alu 0xfffd
	v_add_co_ci_u32_e32 v67, vcc_lo, s1, v91, vcc_lo
	s_delay_alu instid0(VALU_DEP_2) | instskip(SKIP_1) | instid1(VALU_DEP_2)
	v_add_co_u32 v68, vcc_lo, v66, s0
	s_wait_alu 0xfffd
	v_add_co_ci_u32_e32 v69, vcc_lo, s1, v67, vcc_lo
	s_delay_alu instid0(VALU_DEP_2) | instskip(SKIP_1) | instid1(VALU_DEP_2)
	v_add_co_u32 v70, vcc_lo, v68, s0
	s_wait_alu 0xfffd
	v_add_co_ci_u32_e32 v71, vcc_lo, s1, v69, vcc_lo
	v_mul_f64_e32 v[0:1], s[2:3], v[44:45]
	v_mul_f64_e32 v[2:3], s[2:3], v[2:3]
	;; [unrolled: 1-line block ×22, first 2 shown]
	v_add_co_u32 v44, vcc_lo, v70, s0
	s_wait_alu 0xfffd
	v_add_co_ci_u32_e32 v45, vcc_lo, s1, v71, vcc_lo
	s_delay_alu instid0(VALU_DEP_2) | instskip(SKIP_1) | instid1(VALU_DEP_2)
	v_add_co_u32 v46, vcc_lo, v44, s0
	s_wait_alu 0xfffd
	v_add_co_ci_u32_e32 v47, vcc_lo, s1, v45, vcc_lo
	s_delay_alu instid0(VALU_DEP_2) | instskip(SKIP_1) | instid1(VALU_DEP_2)
	;; [unrolled: 4-line block ×5, first 2 shown]
	v_add_co_u32 v54, vcc_lo, v52, s0
	s_wait_alu 0xfffd
	v_add_co_ci_u32_e32 v55, vcc_lo, s1, v53, vcc_lo
	s_clause 0x4
	global_store_b128 v[88:89], v[0:3], off
	global_store_b128 v[90:91], v[4:7], off
	global_store_b128 v[66:67], v[8:11], off
	global_store_b128 v[68:69], v[12:15], off
	global_store_b128 v[70:71], v[16:19], off
	global_store_b128 v[44:45], v[20:23], off
	global_store_b128 v[46:47], v[24:27], off
	global_store_b128 v[48:49], v[28:31], off
	global_store_b128 v[50:51], v[32:35], off
	global_store_b128 v[52:53], v[36:39], off
	global_store_b128 v[54:55], v[40:43], off
.LBB0_15:
	s_nop 0
	s_sendmsg sendmsg(MSG_DEALLOC_VGPRS)
	s_endpgm
	.section	.rodata,"a",@progbits
	.p2align	6, 0x0
	.amdhsa_kernel bluestein_single_back_len275_dim1_dp_op_CI_CI
		.amdhsa_group_segment_fixed_size 4400
		.amdhsa_private_segment_fixed_size 0
		.amdhsa_kernarg_size 104
		.amdhsa_user_sgpr_count 2
		.amdhsa_user_sgpr_dispatch_ptr 0
		.amdhsa_user_sgpr_queue_ptr 0
		.amdhsa_user_sgpr_kernarg_segment_ptr 1
		.amdhsa_user_sgpr_dispatch_id 0
		.amdhsa_user_sgpr_private_segment_size 0
		.amdhsa_wavefront_size32 1
		.amdhsa_uses_dynamic_stack 0
		.amdhsa_enable_private_segment 0
		.amdhsa_system_sgpr_workgroup_id_x 1
		.amdhsa_system_sgpr_workgroup_id_y 0
		.amdhsa_system_sgpr_workgroup_id_z 0
		.amdhsa_system_sgpr_workgroup_info 0
		.amdhsa_system_vgpr_workitem_id 0
		.amdhsa_next_free_vgpr 238
		.amdhsa_next_free_sgpr 38
		.amdhsa_reserve_vcc 1
		.amdhsa_float_round_mode_32 0
		.amdhsa_float_round_mode_16_64 0
		.amdhsa_float_denorm_mode_32 3
		.amdhsa_float_denorm_mode_16_64 3
		.amdhsa_fp16_overflow 0
		.amdhsa_workgroup_processor_mode 1
		.amdhsa_memory_ordered 1
		.amdhsa_forward_progress 0
		.amdhsa_round_robin_scheduling 0
		.amdhsa_exception_fp_ieee_invalid_op 0
		.amdhsa_exception_fp_denorm_src 0
		.amdhsa_exception_fp_ieee_div_zero 0
		.amdhsa_exception_fp_ieee_overflow 0
		.amdhsa_exception_fp_ieee_underflow 0
		.amdhsa_exception_fp_ieee_inexact 0
		.amdhsa_exception_int_div_zero 0
	.end_amdhsa_kernel
	.text
.Lfunc_end0:
	.size	bluestein_single_back_len275_dim1_dp_op_CI_CI, .Lfunc_end0-bluestein_single_back_len275_dim1_dp_op_CI_CI
                                        ; -- End function
	.section	.AMDGPU.csdata,"",@progbits
; Kernel info:
; codeLenInByte = 10220
; NumSgprs: 40
; NumVgprs: 238
; ScratchSize: 0
; MemoryBound: 0
; FloatMode: 240
; IeeeMode: 1
; LDSByteSize: 4400 bytes/workgroup (compile time only)
; SGPRBlocks: 4
; VGPRBlocks: 29
; NumSGPRsForWavesPerEU: 40
; NumVGPRsForWavesPerEU: 238
; Occupancy: 6
; WaveLimiterHint : 1
; COMPUTE_PGM_RSRC2:SCRATCH_EN: 0
; COMPUTE_PGM_RSRC2:USER_SGPR: 2
; COMPUTE_PGM_RSRC2:TRAP_HANDLER: 0
; COMPUTE_PGM_RSRC2:TGID_X_EN: 1
; COMPUTE_PGM_RSRC2:TGID_Y_EN: 0
; COMPUTE_PGM_RSRC2:TGID_Z_EN: 0
; COMPUTE_PGM_RSRC2:TIDIG_COMP_CNT: 0
	.text
	.p2alignl 7, 3214868480
	.fill 96, 4, 3214868480
	.type	__hip_cuid_4d9917c5590d76b8,@object ; @__hip_cuid_4d9917c5590d76b8
	.section	.bss,"aw",@nobits
	.globl	__hip_cuid_4d9917c5590d76b8
__hip_cuid_4d9917c5590d76b8:
	.byte	0                               ; 0x0
	.size	__hip_cuid_4d9917c5590d76b8, 1

	.ident	"AMD clang version 19.0.0git (https://github.com/RadeonOpenCompute/llvm-project roc-6.4.0 25133 c7fe45cf4b819c5991fe208aaa96edf142730f1d)"
	.section	".note.GNU-stack","",@progbits
	.addrsig
	.addrsig_sym __hip_cuid_4d9917c5590d76b8
	.amdgpu_metadata
---
amdhsa.kernels:
  - .args:
      - .actual_access:  read_only
        .address_space:  global
        .offset:         0
        .size:           8
        .value_kind:     global_buffer
      - .actual_access:  read_only
        .address_space:  global
        .offset:         8
        .size:           8
        .value_kind:     global_buffer
      - .actual_access:  read_only
        .address_space:  global
        .offset:         16
        .size:           8
        .value_kind:     global_buffer
      - .actual_access:  read_only
        .address_space:  global
        .offset:         24
        .size:           8
        .value_kind:     global_buffer
      - .actual_access:  read_only
        .address_space:  global
        .offset:         32
        .size:           8
        .value_kind:     global_buffer
      - .offset:         40
        .size:           8
        .value_kind:     by_value
      - .address_space:  global
        .offset:         48
        .size:           8
        .value_kind:     global_buffer
      - .address_space:  global
        .offset:         56
        .size:           8
        .value_kind:     global_buffer
      - .address_space:  global
        .offset:         64
        .size:           8
        .value_kind:     global_buffer
      - .address_space:  global
        .offset:         72
        .size:           8
        .value_kind:     global_buffer
      - .offset:         80
        .size:           4
        .value_kind:     by_value
      - .address_space:  global
        .offset:         88
        .size:           8
        .value_kind:     global_buffer
      - .address_space:  global
        .offset:         96
        .size:           8
        .value_kind:     global_buffer
    .group_segment_fixed_size: 4400
    .kernarg_segment_align: 8
    .kernarg_segment_size: 104
    .language:       OpenCL C
    .language_version:
      - 2
      - 0
    .max_flat_workgroup_size: 55
    .name:           bluestein_single_back_len275_dim1_dp_op_CI_CI
    .private_segment_fixed_size: 0
    .sgpr_count:     40
    .sgpr_spill_count: 0
    .symbol:         bluestein_single_back_len275_dim1_dp_op_CI_CI.kd
    .uniform_work_group_size: 1
    .uses_dynamic_stack: false
    .vgpr_count:     238
    .vgpr_spill_count: 0
    .wavefront_size: 32
    .workgroup_processor_mode: 1
amdhsa.target:   amdgcn-amd-amdhsa--gfx1201
amdhsa.version:
  - 1
  - 2
...

	.end_amdgpu_metadata
